;; amdgpu-corpus repo=ROCm/rocFFT kind=compiled arch=gfx906 opt=O3
	.text
	.amdgcn_target "amdgcn-amd-amdhsa--gfx906"
	.amdhsa_code_object_version 6
	.protected	bluestein_single_fwd_len22_dim1_sp_op_CI_CI ; -- Begin function bluestein_single_fwd_len22_dim1_sp_op_CI_CI
	.globl	bluestein_single_fwd_len22_dim1_sp_op_CI_CI
	.p2align	8
	.type	bluestein_single_fwd_len22_dim1_sp_op_CI_CI,@function
bluestein_single_fwd_len22_dim1_sp_op_CI_CI: ; @bluestein_single_fwd_len22_dim1_sp_op_CI_CI
; %bb.0:
	s_load_dwordx4 s[12:15], s[4:5], 0x28
	v_lshrrev_b32_e32 v1, 1, v0
	v_lshl_or_b32 v20, s6, 5, v1
	v_mov_b32_e32 v21, 0
	s_waitcnt lgkmcnt(0)
	v_cmp_gt_u64_e32 vcc, s[12:13], v[20:21]
	s_and_saveexec_b64 s[0:1], vcc
	s_cbranch_execz .LBB0_10
; %bb.1:
	s_load_dwordx4 s[0:3], s[4:5], 0x18
	v_and_b32_e32 v61, 1, v0
	v_lshlrev_b32_e32 v64, 3, v61
	v_mul_u32_u24_e32 v49, 22, v1
	v_lshl_or_b32 v62, v49, 3, v64
	s_waitcnt lgkmcnt(0)
	s_load_dwordx4 s[16:19], s[0:1], 0x0
	s_load_dwordx4 s[8:11], s[4:5], 0x0
	s_mov_b32 s12, 0x3f575c64
	s_mov_b32 s6, 0x3ed4b147
	;; [unrolled: 1-line block ×3, first 2 shown]
	s_waitcnt lgkmcnt(0)
	v_mad_u64_u32 v[2:3], s[0:1], s18, v20, 0
	v_mul_lo_u32 v5, s17, v61
	v_mul_lo_u32 v4, s16, v61
	v_mov_b32_e32 v0, v3
	v_mad_u64_u32 v[6:7], s[0:1], s19, v20, v[0:1]
	v_mov_b32_e32 v0, s15
	v_lshlrev_b64 v[4:5], 3, v[4:5]
	v_mov_b32_e32 v3, v6
	v_lshlrev_b64 v[2:3], 3, v[2:3]
	s_lshl_b64 s[0:1], s[16:17], 4
	v_add_co_u32_e32 v2, vcc, s14, v2
	v_addc_co_u32_e32 v0, vcc, v0, v3, vcc
	v_add_co_u32_e32 v2, vcc, v2, v4
	v_addc_co_u32_e32 v3, vcc, v0, v5, vcc
	global_load_dwordx2 v[4:5], v[2:3], off
	v_mov_b32_e32 v0, s1
	v_add_co_u32_e32 v2, vcc, s0, v2
	v_addc_co_u32_e32 v3, vcc, v3, v0, vcc
	global_load_dwordx2 v[6:7], v[2:3], off
	v_add_co_u32_e32 v2, vcc, s0, v2
	v_addc_co_u32_e32 v3, vcc, v3, v0, vcc
	v_add_co_u32_e32 v8, vcc, s0, v2
	v_addc_co_u32_e32 v9, vcc, v3, v0, vcc
	;; [unrolled: 2-line block ×3, first 2 shown]
	global_load_dwordx2 v[41:42], v64, s[8:9]
	global_load_dwordx2 v[39:40], v64, s[8:9] offset:16
	global_load_dwordx2 v[33:34], v64, s[8:9] offset:32
	;; [unrolled: 1-line block ×3, first 2 shown]
	global_load_dwordx2 v[12:13], v[2:3], off
	global_load_dwordx2 v[14:15], v[8:9], off
	;; [unrolled: 1-line block ×3, first 2 shown]
	v_add_co_u32_e32 v2, vcc, s0, v10
	v_addc_co_u32_e32 v3, vcc, v11, v0, vcc
	global_load_dwordx2 v[8:9], v[2:3], off
	global_load_dwordx2 v[35:36], v64, s[8:9] offset:64
	global_load_dwordx2 v[23:24], v64, s[8:9] offset:80
	v_add_co_u32_e32 v2, vcc, s0, v2
	v_addc_co_u32_e32 v3, vcc, v3, v0, vcc
	global_load_dwordx2 v[10:11], v[2:3], off
	v_add_co_u32_e32 v2, vcc, s0, v2
	v_addc_co_u32_e32 v3, vcc, v3, v0, vcc
	global_load_dwordx2 v[18:19], v[2:3], off
	global_load_dwordx2 v[37:38], v64, s[8:9] offset:96
	global_load_dwordx2 v[25:26], v64, s[8:9] offset:112
	v_add_co_u32_e32 v2, vcc, s0, v2
	v_addc_co_u32_e32 v3, vcc, v3, v0, vcc
	global_load_dwordx2 v[43:44], v[2:3], off
	global_load_dwordx2 v[31:32], v64, s[8:9] offset:128
	v_add_co_u32_e32 v2, vcc, s0, v2
	v_addc_co_u32_e32 v3, vcc, v3, v0, vcc
	global_load_dwordx2 v[45:46], v[2:3], off
	global_load_dwordx2 v[27:28], v64, s[8:9] offset:144
	v_add_co_u32_e32 v2, vcc, s0, v2
	v_addc_co_u32_e32 v3, vcc, v3, v0, vcc
	global_load_dwordx2 v[29:30], v64, s[8:9] offset:160
	global_load_dwordx2 v[47:48], v[2:3], off
	v_or_b32_e32 v0, v49, v61
	v_lshlrev_b32_e32 v63, 3, v0
	s_load_dwordx4 s[0:3], s[2:3], 0x0
	s_mov_b32 s13, 0xbf27a4f4
	s_mov_b32 s14, 0xbf75a155
	s_load_dwordx2 s[4:5], s[4:5], 0x38
	v_mov_b32_e32 v50, s9
	s_waitcnt vmcnt(19)
	v_mul_f32_e32 v0, v5, v42
	v_mul_f32_e32 v1, v4, v42
	v_fmac_f32_e32 v0, v4, v41
	v_fma_f32 v1, v5, v41, -v1
	s_waitcnt vmcnt(18)
	v_mul_f32_e32 v2, v7, v40
	v_mul_f32_e32 v3, v6, v40
	ds_write_b64 v63, v[0:1]
	s_waitcnt vmcnt(15)
	v_mul_f32_e32 v0, v13, v34
	v_mul_f32_e32 v1, v12, v34
	v_fmac_f32_e32 v2, v6, v39
	v_fma_f32 v3, v7, v39, -v3
	v_fmac_f32_e32 v0, v12, v33
	v_fma_f32 v1, v13, v33, -v1
	ds_write2_b64 v62, v[2:3], v[0:1] offset0:2 offset1:4
	s_waitcnt vmcnt(14)
	v_mul_f32_e32 v0, v15, v22
	v_mul_f32_e32 v1, v14, v22
	s_waitcnt vmcnt(11)
	v_mul_f32_e32 v2, v17, v36
	v_mul_f32_e32 v3, v16, v36
	v_fmac_f32_e32 v0, v14, v21
	v_fma_f32 v1, v15, v21, -v1
	v_fmac_f32_e32 v2, v16, v35
	v_fma_f32 v3, v17, v35, -v3
	ds_write2_b64 v62, v[0:1], v[2:3] offset0:6 offset1:8
	s_waitcnt vmcnt(10)
	v_mul_f32_e32 v0, v9, v24
	v_mul_f32_e32 v1, v8, v24
	;; [unrolled: 11-line block ×4, first 2 shown]
	s_waitcnt vmcnt(0)
	v_mul_f32_e32 v2, v48, v30
	v_mul_f32_e32 v3, v47, v30
	v_fmac_f32_e32 v0, v45, v27
	v_fma_f32 v1, v46, v27, -v1
	v_fmac_f32_e32 v2, v47, v29
	v_fma_f32 v3, v48, v29, -v3
	ds_write2_b64 v62, v[0:1], v[2:3] offset0:18 offset1:20
	s_waitcnt lgkmcnt(0)
	; wave barrier
	s_waitcnt lgkmcnt(0)
	ds_read_b64 v[43:44], v63
	ds_read2_b64 v[0:3], v62 offset0:2 offset1:4
	ds_read2_b64 v[4:7], v62 offset0:6 offset1:8
	;; [unrolled: 1-line block ×5, first 2 shown]
	s_waitcnt lgkmcnt(4)
	v_add_f32_e32 v45, v43, v0
	v_add_f32_e32 v46, v44, v1
	v_add_f32_e32 v45, v45, v2
	v_add_f32_e32 v46, v46, v3
	s_waitcnt lgkmcnt(3)
	v_add_f32_e32 v45, v45, v4
	v_add_f32_e32 v46, v46, v5
	v_add_f32_e32 v45, v45, v6
	v_add_f32_e32 v46, v46, v7
	;; [unrolled: 5-line block ×3, first 2 shown]
	s_waitcnt lgkmcnt(1)
	v_add_f32_e32 v45, v45, v12
	s_waitcnt lgkmcnt(0)
	v_add_f32_e32 v47, v18, v0
	v_sub_f32_e32 v0, v0, v18
	v_add_f32_e32 v46, v46, v13
	v_add_f32_e32 v45, v45, v14
	v_mul_f32_e32 v51, 0xbf0a6770, v0
	v_mul_f32_e32 v55, 0xbf68dda4, v0
	;; [unrolled: 1-line block ×5, first 2 shown]
	v_add_f32_e32 v46, v46, v15
	v_add_f32_e32 v45, v45, v16
	;; [unrolled: 1-line block ×3, first 2 shown]
	v_sub_f32_e32 v1, v1, v19
	v_mov_b32_e32 v52, v51
	v_mov_b32_e32 v56, v55
	;; [unrolled: 1-line block ×5, first 2 shown]
	v_add_f32_e32 v46, v46, v17
	v_add_f32_e32 v45, v45, v18
	v_mul_f32_e32 v18, 0xbf0a6770, v1
	v_fmac_f32_e32 v52, 0x3f575c64, v48
	v_fma_f32 v51, v48, s12, -v51
	v_mul_f32_e32 v53, 0xbf68dda4, v1
	v_fmac_f32_e32 v56, 0x3ed4b147, v48
	v_fma_f32 v55, v48, s6, -v55
	;; [unrolled: 3-line block ×5, first 2 shown]
	v_add_f32_e32 v46, v46, v19
	v_fma_f32 v19, v47, s12, -v18
	v_add_f32_e32 v52, v44, v52
	v_fmac_f32_e32 v18, 0x3f575c64, v47
	v_add_f32_e32 v51, v44, v51
	v_fma_f32 v54, v47, s6, -v53
	v_add_f32_e32 v56, v44, v56
	v_fmac_f32_e32 v53, 0x3ed4b147, v47
	;; [unrolled: 4-line block ×5, first 2 shown]
	v_add_f32_e32 v0, v44, v0
	v_add_f32_e32 v44, v17, v3
	v_sub_f32_e32 v3, v3, v17
	v_add_f32_e32 v19, v43, v19
	v_add_f32_e32 v18, v43, v18
	;; [unrolled: 1-line block ×11, first 2 shown]
	v_sub_f32_e32 v2, v2, v16
	v_mul_f32_e32 v16, 0xbf68dda4, v3
	v_fma_f32 v17, v43, s6, -v16
	v_add_f32_e32 v17, v17, v19
	v_mul_f32_e32 v19, 0xbf68dda4, v2
	v_fmac_f32_e32 v16, 0x3ed4b147, v43
	v_mov_b32_e32 v47, v19
	v_add_f32_e32 v16, v16, v18
	v_fma_f32 v18, v44, s6, -v19
	v_mul_f32_e32 v19, 0xbf4178ce, v3
	v_fma_f32 v48, v43, s13, -v19
	v_fmac_f32_e32 v19, 0xbf27a4f4, v43
	v_fmac_f32_e32 v47, 0x3ed4b147, v44
	v_add_f32_e32 v18, v18, v51
	v_mul_f32_e32 v51, 0xbf4178ce, v2
	v_add_f32_e32 v19, v19, v53
	v_mul_f32_e32 v53, 0x3e903f40, v3
	v_add_f32_e32 v47, v47, v52
	v_add_f32_e32 v48, v48, v54
	v_mov_b32_e32 v52, v51
	v_fma_f32 v51, v44, s13, -v51
	v_fma_f32 v54, v43, s14, -v53
	v_fmac_f32_e32 v53, 0xbf75a155, v43
	v_fmac_f32_e32 v52, 0xbf27a4f4, v44
	v_add_f32_e32 v51, v51, v55
	v_mul_f32_e32 v55, 0x3e903f40, v2
	v_add_f32_e32 v53, v53, v57
	v_mul_f32_e32 v57, 0x3f7d64f0, v3
	v_add_f32_e32 v52, v52, v56
	v_add_f32_e32 v54, v54, v58
	v_mov_b32_e32 v56, v55
	v_fma_f32 v55, v44, s14, -v55
	v_fma_f32 v58, v43, s7, -v57
	v_fmac_f32_e32 v57, 0xbe11bafb, v43
	v_mul_f32_e32 v3, 0x3f0a6770, v3
	v_add_f32_e32 v55, v55, v59
	v_mul_f32_e32 v59, 0x3f7d64f0, v2
	v_add_f32_e32 v57, v57, v65
	v_fma_f32 v65, v43, s12, -v3
	v_mul_f32_e32 v2, 0x3f0a6770, v2
	v_fmac_f32_e32 v3, 0x3f575c64, v43
	v_add_f32_e32 v58, v58, v66
	v_mov_b32_e32 v66, v2
	v_add_f32_e32 v1, v3, v1
	v_fma_f32 v2, v44, s12, -v2
	v_add_f32_e32 v3, v15, v5
	v_sub_f32_e32 v5, v5, v15
	v_add_f32_e32 v0, v2, v0
	v_add_f32_e32 v2, v14, v4
	v_sub_f32_e32 v4, v4, v14
	v_mul_f32_e32 v14, 0xbf7d64f0, v5
	v_fma_f32 v15, v2, s7, -v14
	v_fmac_f32_e32 v56, 0xbf75a155, v44
	v_add_f32_e32 v15, v15, v17
	v_mul_f32_e32 v17, 0xbf7d64f0, v4
	v_fmac_f32_e32 v14, 0xbe11bafb, v2
	v_add_f32_e32 v56, v56, v60
	v_mov_b32_e32 v60, v59
	v_mov_b32_e32 v43, v17
	v_add_f32_e32 v14, v14, v16
	v_fma_f32 v16, v3, s7, -v17
	v_mul_f32_e32 v17, 0x3e903f40, v5
	v_fmac_f32_e32 v60, 0xbe11bafb, v44
	v_fma_f32 v59, v44, s7, -v59
	v_fmac_f32_e32 v66, 0x3f575c64, v44
	v_fmac_f32_e32 v43, 0xbe11bafb, v3
	v_add_f32_e32 v16, v16, v18
	v_fma_f32 v18, v2, s14, -v17
	v_mul_f32_e32 v44, 0x3e903f40, v4
	v_fmac_f32_e32 v17, 0xbf75a155, v2
	v_add_f32_e32 v43, v43, v47
	v_mov_b32_e32 v47, v44
	v_add_f32_e32 v17, v17, v19
	v_fma_f32 v19, v3, s14, -v44
	v_mul_f32_e32 v44, 0x3f68dda4, v5
	v_add_f32_e32 v18, v18, v48
	v_fma_f32 v48, v2, s6, -v44
	v_fmac_f32_e32 v44, 0x3ed4b147, v2
	v_fmac_f32_e32 v47, 0xbf75a155, v3
	v_add_f32_e32 v19, v19, v51
	v_mul_f32_e32 v51, 0x3f68dda4, v4
	v_add_f32_e32 v44, v44, v53
	v_mul_f32_e32 v53, 0xbf0a6770, v5
	v_add_f32_e32 v47, v47, v52
	v_add_f32_e32 v48, v48, v54
	v_mov_b32_e32 v52, v51
	v_fma_f32 v51, v3, s6, -v51
	v_fma_f32 v54, v2, s12, -v53
	v_fmac_f32_e32 v53, 0x3f575c64, v2
	v_mul_f32_e32 v5, 0xbf4178ce, v5
	v_add_f32_e32 v51, v51, v55
	v_mul_f32_e32 v55, 0xbf0a6770, v4
	v_add_f32_e32 v53, v53, v57
	v_fma_f32 v57, v2, s13, -v5
	v_mul_f32_e32 v4, 0xbf4178ce, v4
	v_fmac_f32_e32 v5, 0xbf27a4f4, v2
	v_fmac_f32_e32 v52, 0x3ed4b147, v3
	v_add_f32_e32 v1, v5, v1
	v_fma_f32 v2, v3, s13, -v4
	v_sub_f32_e32 v5, v7, v13
	v_add_f32_e32 v52, v52, v56
	v_add_f32_e32 v54, v54, v58
	v_mov_b32_e32 v56, v55
	v_mov_b32_e32 v58, v4
	v_add_f32_e32 v0, v2, v0
	v_add_f32_e32 v2, v12, v6
	v_sub_f32_e32 v4, v6, v12
	v_mul_f32_e32 v6, 0xbf4178ce, v5
	v_fmac_f32_e32 v56, 0x3f575c64, v3
	v_fma_f32 v55, v3, s12, -v55
	v_fmac_f32_e32 v58, 0xbf27a4f4, v3
	v_add_f32_e32 v3, v13, v7
	v_fma_f32 v7, v2, s13, -v6
	v_mul_f32_e32 v12, 0xbf4178ce, v4
	v_fmac_f32_e32 v6, 0xbf27a4f4, v2
	v_mov_b32_e32 v13, v12
	v_add_f32_e32 v6, v6, v14
	v_fma_f32 v12, v3, s13, -v12
	v_mul_f32_e32 v14, 0x3f7d64f0, v5
	v_add_f32_e32 v7, v7, v15
	v_add_f32_e32 v12, v12, v16
	v_fma_f32 v15, v2, s7, -v14
	v_mul_f32_e32 v16, 0x3f7d64f0, v4
	v_fmac_f32_e32 v14, 0xbe11bafb, v2
	v_fmac_f32_e32 v13, 0xbf27a4f4, v3
	v_add_f32_e32 v15, v15, v18
	v_mov_b32_e32 v18, v16
	v_add_f32_e32 v14, v14, v17
	v_fma_f32 v16, v3, s7, -v16
	v_mul_f32_e32 v17, 0xbf0a6770, v5
	v_add_f32_e32 v13, v13, v43
	v_fmac_f32_e32 v18, 0xbe11bafb, v3
	v_add_f32_e32 v16, v16, v19
	v_fma_f32 v19, v2, s12, -v17
	v_mul_f32_e32 v43, 0xbf0a6770, v4
	v_fmac_f32_e32 v17, 0x3f575c64, v2
	v_add_f32_e32 v18, v18, v47
	v_mov_b32_e32 v47, v43
	v_add_f32_e32 v17, v17, v44
	v_fma_f32 v43, v3, s12, -v43
	v_mul_f32_e32 v44, 0xbe903f40, v5
	v_add_f32_e32 v59, v59, v67
	v_add_f32_e32 v19, v19, v48
	v_fmac_f32_e32 v47, 0x3f575c64, v3
	v_add_f32_e32 v43, v43, v51
	v_fma_f32 v48, v2, s14, -v44
	v_mul_f32_e32 v51, 0xbe903f40, v4
	v_fmac_f32_e32 v44, 0xbf75a155, v2
	v_mul_f32_e32 v5, 0x3f68dda4, v5
	v_add_f32_e32 v60, v60, v68
	v_add_f32_e32 v65, v65, v69
	;; [unrolled: 1-line block ×4, first 2 shown]
	v_mov_b32_e32 v52, v51
	v_add_f32_e32 v44, v44, v53
	v_fma_f32 v51, v3, s14, -v51
	v_fma_f32 v53, v2, s6, -v5
	v_mul_f32_e32 v4, 0x3f68dda4, v4
	v_fmac_f32_e32 v5, 0x3ed4b147, v2
	v_add_f32_e32 v56, v56, v60
	v_add_f32_e32 v57, v57, v65
	v_fmac_f32_e32 v52, 0xbf75a155, v3
	v_add_f32_e32 v51, v51, v55
	v_add_f32_e32 v55, v5, v1
	v_fma_f32 v1, v3, s6, -v4
	v_sub_f32_e32 v60, v9, v11
	v_add_f32_e32 v52, v52, v56
	v_add_f32_e32 v53, v53, v57
	;; [unrolled: 1-line block ×4, first 2 shown]
	v_mul_f32_e32 v0, 0xbe903f40, v60
	v_add_f32_e32 v66, v66, v70
	v_add_f32_e32 v48, v48, v54
	v_mov_b32_e32 v54, v4
	v_sub_f32_e32 v59, v8, v10
	v_fma_f32 v1, v57, s14, -v0
	v_fmac_f32_e32 v0, 0xbf75a155, v57
	v_add_f32_e32 v58, v58, v66
	v_fmac_f32_e32 v54, 0x3ed4b147, v3
	v_add_f32_e32 v2, v1, v7
	v_mul_f32_e32 v1, 0xbe903f40, v59
	v_add_f32_e32 v0, v0, v6
	v_mul_f32_e32 v6, 0x3f0a6770, v60
	v_mul_f32_e32 v7, 0x3f0a6770, v59
	;; [unrolled: 1-line block ×3, first 2 shown]
	v_add_f32_e32 v54, v54, v58
	v_add_f32_e32 v58, v11, v9
	v_mov_b32_e32 v3, v1
	v_fma_f32 v4, v57, s12, -v6
	v_mov_b32_e32 v5, v7
	v_fma_f32 v8, v57, s13, -v10
	v_fmac_f32_e32 v3, 0xbf75a155, v58
	v_add_f32_e32 v4, v4, v15
	v_fmac_f32_e32 v5, 0x3f575c64, v58
	v_fmac_f32_e32 v6, 0x3f575c64, v57
	v_add_f32_e32 v8, v8, v19
	v_mul_f32_e32 v11, 0xbf4178ce, v59
	v_fmac_f32_e32 v10, 0xbf27a4f4, v57
	v_mul_f32_e32 v15, 0x3f68dda4, v59
	v_mul_f32_e32 v19, 0xbf7d64f0, v59
	v_add_f32_e32 v3, v3, v13
	v_fma_f32 v1, v58, s14, -v1
	v_add_f32_e32 v5, v5, v18
	v_add_f32_e32 v6, v6, v14
	v_fma_f32 v7, v58, s12, -v7
	v_mov_b32_e32 v9, v11
	v_add_f32_e32 v10, v10, v17
	v_fma_f32 v11, v58, s13, -v11
	v_mul_f32_e32 v14, 0x3f68dda4, v60
	v_mov_b32_e32 v13, v15
	v_mul_f32_e32 v18, 0xbf7d64f0, v60
	v_mov_b32_e32 v17, v19
	v_add_f32_e32 v1, v1, v12
	v_add_f32_e32 v7, v7, v16
	v_fmac_f32_e32 v9, 0xbf27a4f4, v58
	v_add_f32_e32 v11, v11, v43
	v_fma_f32 v12, v57, s6, -v14
	v_fmac_f32_e32 v13, 0x3ed4b147, v58
	v_fmac_f32_e32 v14, 0x3ed4b147, v57
	v_fma_f32 v15, v58, s6, -v15
	v_fma_f32 v16, v57, s7, -v18
	v_fmac_f32_e32 v17, 0xbe11bafb, v58
	v_fmac_f32_e32 v18, 0xbe11bafb, v57
	v_fma_f32 v19, v58, s7, -v19
	v_mul_u32_u24_e32 v43, 11, v61
	v_add_f32_e32 v9, v9, v47
	v_add_f32_e32 v12, v12, v48
	;; [unrolled: 1-line block ×9, first 2 shown]
	v_add_lshl_u32 v66, v49, v43, 3
	s_waitcnt lgkmcnt(0)
	; wave barrier
	ds_write2_b64 v66, v[45:46], v[2:3] offset1:1
	ds_write2_b64 v66, v[4:5], v[8:9] offset0:2 offset1:3
	ds_write2_b64 v66, v[12:13], v[16:17] offset0:4 offset1:5
	;; [unrolled: 1-line block ×4, first 2 shown]
	ds_write_b64 v66, v[0:1] offset:80
	s_waitcnt lgkmcnt(0)
	; wave barrier
	s_waitcnt lgkmcnt(0)
	ds_read2_b64 v[12:15], v62 offset0:11 offset1:13
	ds_read2_b64 v[8:11], v62 offset0:2 offset1:4
	;; [unrolled: 1-line block ×4, first 2 shown]
	ds_read_b64 v[57:58], v63
	ds_read_b64 v[59:60], v62 offset:152
	v_add_co_u32_e32 v55, vcc, s8, v64
	v_addc_co_u32_e32 v56, vcc, 0, v50, vcc
	v_cmp_eq_u32_e32 vcc, 0, v61
	v_mov_b32_e32 v43, 0
	v_lshlrev_b32_e32 v65, 3, v49
	v_mov_b32_e32 v44, 0
	s_and_saveexec_b64 s[6:7], vcc
	s_cbranch_execz .LBB0_3
; %bb.2:
	ds_read2_b64 v[0:3], v65 offset0:10 offset1:21
	v_mov_b32_e32 v43, 10
	v_mov_b32_e32 v44, 0
.LBB0_3:
	s_or_b64 exec, exec, s[6:7]
	v_lshlrev_b32_e32 v43, 3, v43
	global_load_dwordx2 v[45:46], v64, s[10:11]
	global_load_dwordx2 v[47:48], v64, s[10:11] offset:16
	global_load_dwordx2 v[49:50], v64, s[10:11] offset:32
	;; [unrolled: 1-line block ×4, first 2 shown]
	s_waitcnt vmcnt(4) lgkmcnt(5)
	v_mul_f32_e32 v67, v13, v46
	global_load_dwordx2 v[43:44], v43, s[10:11]
	v_mul_f32_e32 v68, v12, v46
	s_waitcnt vmcnt(4)
	v_mul_f32_e32 v70, v14, v48
	v_mul_f32_e32 v69, v15, v48
	s_waitcnt vmcnt(3) lgkmcnt(2)
	v_mul_f32_e32 v71, v17, v50
	v_mul_f32_e32 v72, v16, v50
	s_waitcnt vmcnt(2)
	v_mul_f32_e32 v73, v19, v52
	v_mul_f32_e32 v74, v18, v52
	s_waitcnt vmcnt(1) lgkmcnt(0)
	v_mul_f32_e32 v75, v60, v54
	v_mul_f32_e32 v76, v59, v54
	v_fma_f32 v12, v12, v45, -v67
	v_fmac_f32_e32 v68, v13, v45
	v_fmac_f32_e32 v70, v15, v47
	v_fma_f32 v13, v14, v47, -v69
	v_fma_f32 v14, v16, v49, -v71
	v_fmac_f32_e32 v72, v17, v49
	v_fma_f32 v16, v18, v51, -v73
	v_fmac_f32_e32 v74, v19, v51
	;; [unrolled: 2-line block ×3, first 2 shown]
	v_sub_f32_e32 v14, v10, v14
	v_sub_f32_e32 v18, v4, v16
	;; [unrolled: 1-line block ×5, first 2 shown]
	v_fma_f32 v10, v10, 2.0, -v14
	v_fma_f32 v4, v4, 2.0, -v18
	;; [unrolled: 1-line block ×5, first 2 shown]
	s_waitcnt vmcnt(0)
	v_mul_f32_e32 v15, v3, v44
	v_mul_f32_e32 v67, v2, v44
	v_fma_f32 v69, v2, v43, -v15
	v_fmac_f32_e32 v67, v3, v43
	v_sub_f32_e32 v2, v57, v12
	v_sub_f32_e32 v3, v58, v68
	;; [unrolled: 1-line block ×5, first 2 shown]
	v_fma_f32 v57, v57, 2.0, -v2
	v_fma_f32 v58, v58, 2.0, -v3
	v_sub_f32_e32 v16, v0, v69
	v_sub_f32_e32 v17, v1, v67
	v_fma_f32 v8, v8, 2.0, -v12
	v_fma_f32 v9, v9, 2.0, -v13
	;; [unrolled: 1-line block ×3, first 2 shown]
	ds_write_b64 v63, v[57:58]
	ds_write2_b64 v62, v[2:3], v[12:13] offset0:11 offset1:13
	ds_write2_b64 v62, v[8:9], v[10:11] offset0:2 offset1:4
	;; [unrolled: 1-line block ×4, first 2 shown]
	ds_write_b64 v62, v[59:60] offset:152
	s_and_saveexec_b64 s[6:7], vcc
	s_cbranch_execz .LBB0_5
; %bb.4:
	v_fma_f32 v1, v1, 2.0, -v17
	v_fma_f32 v0, v0, 2.0, -v16
	ds_write2_b64 v65, v[0:1], v[16:17] offset0:10 offset1:21
.LBB0_5:
	s_or_b64 exec, exec, s[6:7]
	s_waitcnt lgkmcnt(0)
	; wave barrier
	s_waitcnt lgkmcnt(0)
	global_load_dwordx2 v[0:1], v[55:56], off offset:176
	s_add_u32 s6, s8, 0xb0
	s_addc_u32 s7, s9, 0
	global_load_dwordx2 v[18:19], v64, s[6:7] offset:16
	global_load_dwordx2 v[55:56], v64, s[6:7] offset:32
	;; [unrolled: 1-line block ×10, first 2 shown]
	ds_read_b64 v[2:3], v63
	v_add_u32_e32 v59, v65, v64
	s_mov_b32 s8, 0x3f575c64
	s_mov_b32 s6, 0x3ed4b147
	;; [unrolled: 1-line block ×5, first 2 shown]
	s_waitcnt vmcnt(10) lgkmcnt(0)
	v_mul_f32_e32 v4, v3, v1
	v_mul_f32_e32 v5, v2, v1
	v_fma_f32 v4, v2, v0, -v4
	v_fmac_f32_e32 v5, v3, v0
	ds_write_b64 v63, v[4:5]
	ds_read2_b64 v[0:3], v62 offset0:2 offset1:4
	ds_read2_b64 v[4:7], v62 offset0:6 offset1:8
	;; [unrolled: 1-line block ×4, first 2 shown]
	ds_read_b64 v[81:82], v59 offset:80
	ds_read_b64 v[83:84], v62 offset:160
	s_waitcnt vmcnt(9) lgkmcnt(5)
	v_mul_f32_e32 v60, v1, v19
	v_mul_f32_e32 v86, v0, v19
	s_waitcnt vmcnt(8)
	v_mul_f32_e32 v64, v3, v56
	v_mul_f32_e32 v19, v2, v56
	s_waitcnt vmcnt(7) lgkmcnt(4)
	v_mul_f32_e32 v87, v5, v58
	v_mul_f32_e32 v56, v4, v58
	s_waitcnt vmcnt(6)
	v_mul_f32_e32 v88, v7, v68
	v_mul_f32_e32 v58, v6, v68
	;; [unrolled: 6-line block ×3, first 2 shown]
	s_waitcnt vmcnt(3)
	v_mul_f32_e32 v91, v11, v74
	v_mul_f32_e32 v72, v10, v74
	s_waitcnt vmcnt(2)
	v_mul_f32_e32 v92, v13, v76
	v_mul_f32_e32 v74, v12, v76
	;; [unrolled: 3-line block ×3, first 2 shown]
	s_waitcnt vmcnt(0) lgkmcnt(0)
	v_mul_f32_e32 v94, v84, v80
	v_mul_f32_e32 v78, v83, v80
	v_fma_f32 v85, v0, v18, -v60
	v_fmac_f32_e32 v86, v1, v18
	v_fma_f32 v18, v2, v55, -v64
	v_fmac_f32_e32 v19, v3, v55
	;; [unrolled: 2-line block ×10, first 2 shown]
	ds_write2_b64 v62, v[85:86], v[18:19] offset0:2 offset1:4
	ds_write2_b64 v62, v[55:56], v[57:58] offset0:6 offset1:8
	ds_write_b64 v59, v[67:68] offset:80
	ds_write2_b64 v62, v[69:70], v[71:72] offset0:12 offset1:14
	ds_write2_b64 v62, v[73:74], v[75:76] offset0:16 offset1:18
	ds_write_b64 v62, v[77:78] offset:160
	s_waitcnt lgkmcnt(0)
	; wave barrier
	s_waitcnt lgkmcnt(0)
	ds_read_b64 v[18:19], v63
	ds_read2_b64 v[0:3], v62 offset0:2 offset1:4
	ds_read2_b64 v[4:7], v62 offset0:6 offset1:8
	ds_read_b64 v[55:56], v59 offset:80
	ds_read_b64 v[57:58], v62 offset:160
	ds_read2_b64 v[8:11], v62 offset0:12 offset1:14
	ds_read2_b64 v[12:15], v62 offset0:16 offset1:18
	s_waitcnt lgkmcnt(5)
	v_add_f32_e32 v60, v18, v0
	v_add_f32_e32 v64, v19, v1
	;; [unrolled: 1-line block ×4, first 2 shown]
	s_waitcnt lgkmcnt(4)
	v_add_f32_e32 v60, v60, v4
	v_add_f32_e32 v64, v64, v5
	;; [unrolled: 1-line block ×4, first 2 shown]
	s_waitcnt lgkmcnt(3)
	v_add_f32_e32 v60, v60, v55
	v_add_f32_e32 v64, v64, v56
	s_waitcnt lgkmcnt(1)
	v_add_f32_e32 v60, v60, v8
	v_add_f32_e32 v64, v64, v9
	;; [unrolled: 1-line block ×4, first 2 shown]
	s_waitcnt lgkmcnt(0)
	v_add_f32_e32 v60, v60, v12
	v_add_f32_e32 v70, v58, v1
	v_add_f32_e32 v64, v64, v13
	v_add_f32_e32 v60, v60, v14
	v_add_f32_e32 v64, v64, v15
	v_add_f32_e32 v67, v60, v57
	v_sub_f32_e32 v1, v1, v58
	v_mul_f32_e32 v60, 0x3f575c64, v70
	v_mul_f32_e32 v73, 0x3ed4b147, v70
	;; [unrolled: 1-line block ×5, first 2 shown]
	v_add_f32_e32 v69, v57, v0
	v_add_f32_e32 v68, v64, v58
	v_sub_f32_e32 v0, v0, v57
	v_mul_f32_e32 v57, 0xbf0a6770, v1
	v_mov_b32_e32 v64, v60
	v_mul_f32_e32 v71, 0xbf68dda4, v1
	v_mov_b32_e32 v74, v73
	;; [unrolled: 2-line block ×5, first 2 shown]
	v_mov_b32_e32 v58, v57
	v_fmac_f32_e32 v64, 0x3f0a6770, v0
	v_fmac_f32_e32 v60, 0xbf0a6770, v0
	v_mov_b32_e32 v72, v71
	v_fmac_f32_e32 v74, 0x3f68dda4, v0
	v_fmac_f32_e32 v73, 0xbf68dda4, v0
	;; [unrolled: 3-line block ×5, first 2 shown]
	v_fmac_f32_e32 v58, 0x3f575c64, v69
	v_add_f32_e32 v64, v19, v64
	v_fma_f32 v57, v69, s8, -v57
	v_add_f32_e32 v60, v19, v60
	v_fmac_f32_e32 v72, 0x3ed4b147, v69
	v_add_f32_e32 v74, v19, v74
	v_fma_f32 v71, v69, s6, -v71
	v_add_f32_e32 v73, v19, v73
	;; [unrolled: 4-line block ×5, first 2 shown]
	v_add_f32_e32 v19, v15, v3
	v_sub_f32_e32 v3, v3, v15
	v_add_f32_e32 v58, v18, v58
	v_add_f32_e32 v57, v18, v57
	;; [unrolled: 1-line block ×11, first 2 shown]
	v_sub_f32_e32 v2, v2, v14
	v_mul_f32_e32 v14, 0xbf68dda4, v3
	v_mov_b32_e32 v15, v14
	v_fmac_f32_e32 v15, 0x3ed4b147, v18
	v_add_f32_e32 v15, v15, v58
	v_mul_f32_e32 v58, 0x3ed4b147, v19
	v_mov_b32_e32 v69, v58
	v_fma_f32 v14, v18, s6, -v14
	v_fmac_f32_e32 v58, 0xbf68dda4, v2
	v_add_f32_e32 v14, v14, v57
	v_add_f32_e32 v57, v58, v60
	v_mul_f32_e32 v58, 0xbf4178ce, v3
	v_fmac_f32_e32 v69, 0x3f68dda4, v2
	v_mov_b32_e32 v60, v58
	v_fma_f32 v58, v18, s9, -v58
	v_add_f32_e32 v64, v69, v64
	v_fmac_f32_e32 v60, 0xbf27a4f4, v18
	v_mul_f32_e32 v69, 0xbf27a4f4, v19
	v_add_f32_e32 v58, v58, v71
	v_mul_f32_e32 v71, 0x3e903f40, v3
	v_add_f32_e32 v60, v60, v72
	v_mov_b32_e32 v70, v69
	v_fmac_f32_e32 v69, 0xbf4178ce, v2
	v_mov_b32_e32 v72, v71
	v_fma_f32 v71, v18, s10, -v71
	v_fmac_f32_e32 v70, 0x3f4178ce, v2
	v_add_f32_e32 v69, v69, v73
	v_fmac_f32_e32 v72, 0xbf75a155, v18
	v_mul_f32_e32 v73, 0xbf75a155, v19
	v_add_f32_e32 v71, v71, v75
	v_mul_f32_e32 v75, 0x3f7d64f0, v3
	v_add_f32_e32 v70, v70, v74
	v_add_f32_e32 v72, v72, v76
	v_mov_b32_e32 v74, v73
	v_fmac_f32_e32 v73, 0x3e903f40, v2
	v_mov_b32_e32 v76, v75
	v_fma_f32 v75, v18, s7, -v75
	v_mul_f32_e32 v3, 0x3f0a6770, v3
	v_fmac_f32_e32 v74, 0xbe903f40, v2
	v_add_f32_e32 v73, v73, v77
	v_fmac_f32_e32 v76, 0xbe11bafb, v18
	v_mul_f32_e32 v77, 0xbe11bafb, v19
	v_add_f32_e32 v75, v75, v79
	v_mov_b32_e32 v79, v3
	v_mul_f32_e32 v19, 0x3f575c64, v19
	v_fma_f32 v3, v18, s8, -v3
	v_add_f32_e32 v74, v74, v78
	v_add_f32_e32 v76, v76, v80
	v_mov_b32_e32 v78, v77
	v_mov_b32_e32 v80, v19
	v_add_f32_e32 v1, v3, v1
	v_add_f32_e32 v3, v13, v5
	v_sub_f32_e32 v5, v5, v13
	v_fmac_f32_e32 v78, 0xbf7d64f0, v2
	v_fmac_f32_e32 v77, 0x3f7d64f0, v2
	;; [unrolled: 1-line block ×4, first 2 shown]
	v_add_f32_e32 v2, v12, v4
	v_sub_f32_e32 v4, v4, v12
	v_mul_f32_e32 v12, 0xbf7d64f0, v5
	v_mov_b32_e32 v13, v12
	v_fmac_f32_e32 v13, 0xbe11bafb, v2
	v_add_f32_e32 v13, v13, v15
	v_mul_f32_e32 v15, 0xbe11bafb, v3
	v_fmac_f32_e32 v79, 0x3f575c64, v18
	v_mov_b32_e32 v18, v15
	v_fma_f32 v12, v2, s7, -v12
	v_fmac_f32_e32 v15, 0xbf7d64f0, v4
	v_add_f32_e32 v12, v12, v14
	v_add_f32_e32 v14, v15, v57
	v_mul_f32_e32 v15, 0x3e903f40, v5
	v_add_f32_e32 v0, v19, v0
	v_mov_b32_e32 v19, v15
	v_fma_f32 v15, v2, s10, -v15
	v_fmac_f32_e32 v18, 0x3f7d64f0, v4
	v_fmac_f32_e32 v19, 0xbf75a155, v2
	v_mul_f32_e32 v57, 0xbf75a155, v3
	v_add_f32_e32 v15, v15, v58
	v_mul_f32_e32 v58, 0x3f68dda4, v5
	v_add_f32_e32 v18, v18, v64
	v_add_f32_e32 v19, v19, v60
	v_mov_b32_e32 v60, v57
	v_fmac_f32_e32 v57, 0x3e903f40, v4
	v_mov_b32_e32 v64, v58
	v_fma_f32 v58, v2, s6, -v58
	v_fmac_f32_e32 v60, 0xbe903f40, v4
	v_add_f32_e32 v57, v57, v69
	v_fmac_f32_e32 v64, 0x3ed4b147, v2
	v_mul_f32_e32 v69, 0x3ed4b147, v3
	v_add_f32_e32 v58, v58, v71
	v_mul_f32_e32 v71, 0xbf0a6770, v5
	v_add_f32_e32 v60, v60, v70
	v_add_f32_e32 v64, v64, v72
	v_mov_b32_e32 v70, v69
	v_fmac_f32_e32 v69, 0x3f68dda4, v4
	v_mov_b32_e32 v72, v71
	v_add_f32_e32 v69, v69, v73
	v_fmac_f32_e32 v72, 0x3f575c64, v2
	v_mul_f32_e32 v73, 0x3f575c64, v3
	v_fma_f32 v71, v2, s8, -v71
	v_mul_f32_e32 v5, 0xbf4178ce, v5
	v_mul_f32_e32 v3, 0xbf27a4f4, v3
	v_fmac_f32_e32 v70, 0xbf68dda4, v4
	v_add_f32_e32 v72, v72, v76
	v_add_f32_e32 v71, v71, v75
	v_mov_b32_e32 v75, v5
	v_mov_b32_e32 v76, v3
	v_fmac_f32_e32 v3, 0xbf4178ce, v4
	v_add_f32_e32 v70, v70, v74
	v_mov_b32_e32 v74, v73
	v_fmac_f32_e32 v75, 0xbf27a4f4, v2
	v_fma_f32 v2, v2, s9, -v5
	v_add_f32_e32 v0, v3, v0
	v_add_f32_e32 v3, v11, v7
	v_sub_f32_e32 v5, v7, v11
	v_fmac_f32_e32 v74, 0x3f0a6770, v4
	v_fmac_f32_e32 v73, 0xbf0a6770, v4
	;; [unrolled: 1-line block ×3, first 2 shown]
	v_add_f32_e32 v1, v2, v1
	v_add_f32_e32 v2, v10, v6
	v_sub_f32_e32 v4, v6, v10
	v_mul_f32_e32 v6, 0xbf4178ce, v5
	v_mul_f32_e32 v10, 0xbf27a4f4, v3
	v_mov_b32_e32 v7, v6
	v_mov_b32_e32 v11, v10
	v_fma_f32 v6, v2, s9, -v6
	v_fmac_f32_e32 v10, 0xbf4178ce, v4
	v_fmac_f32_e32 v7, 0xbf27a4f4, v2
	;; [unrolled: 1-line block ×3, first 2 shown]
	v_add_f32_e32 v6, v6, v12
	v_add_f32_e32 v10, v10, v14
	v_mul_f32_e32 v12, 0x3f7d64f0, v5
	v_mul_f32_e32 v14, 0xbe11bafb, v3
	v_add_f32_e32 v7, v7, v13
	v_add_f32_e32 v11, v11, v18
	v_mov_b32_e32 v13, v12
	v_mov_b32_e32 v18, v14
	v_fma_f32 v12, v2, s7, -v12
	v_fmac_f32_e32 v18, 0xbf7d64f0, v4
	v_add_f32_e32 v12, v12, v15
	v_mul_f32_e32 v15, 0xbf0a6770, v5
	v_add_f32_e32 v60, v18, v60
	v_mov_b32_e32 v18, v15
	v_fmac_f32_e32 v14, 0x3f7d64f0, v4
	v_fmac_f32_e32 v18, 0x3f575c64, v2
	;; [unrolled: 1-line block ×3, first 2 shown]
	v_add_f32_e32 v14, v14, v57
	v_add_f32_e32 v57, v18, v64
	v_mul_f32_e32 v18, 0x3f575c64, v3
	v_add_f32_e32 v13, v13, v19
	v_mov_b32_e32 v19, v18
	v_fma_f32 v15, v2, s8, -v15
	v_fmac_f32_e32 v18, 0xbf0a6770, v4
	v_fmac_f32_e32 v19, 0x3f0a6770, v4
	v_add_f32_e32 v15, v15, v58
	v_add_f32_e32 v58, v18, v69
	v_mul_f32_e32 v18, 0xbe903f40, v5
	v_add_f32_e32 v64, v19, v70
	v_mov_b32_e32 v19, v18
	v_fmac_f32_e32 v19, 0xbf75a155, v2
	v_fma_f32 v18, v2, s10, -v18
	v_mul_f32_e32 v5, 0x3f68dda4, v5
	v_add_f32_e32 v77, v77, v81
	v_add_f32_e32 v79, v79, v83
	;; [unrolled: 1-line block ×3, first 2 shown]
	v_mul_f32_e32 v19, 0xbf75a155, v3
	v_add_f32_e32 v71, v18, v71
	v_mov_b32_e32 v18, v5
	v_add_f32_e32 v73, v73, v77
	v_add_f32_e32 v75, v75, v79
	v_mov_b32_e32 v70, v19
	v_fmac_f32_e32 v19, 0xbe903f40, v4
	v_fmac_f32_e32 v18, 0x3ed4b147, v2
	v_mul_f32_e32 v3, 0x3ed4b147, v3
	v_add_f32_e32 v78, v78, v82
	v_add_f32_e32 v80, v80, v84
	;; [unrolled: 1-line block ×4, first 2 shown]
	v_mov_b32_e32 v18, v3
	v_fma_f32 v2, v2, s6, -v5
	v_add_f32_e32 v77, v8, v55
	v_sub_f32_e32 v79, v55, v8
	v_sub_f32_e32 v55, v56, v9
	v_add_f32_e32 v74, v74, v78
	v_add_f32_e32 v76, v76, v80
	v_fmac_f32_e32 v70, 0x3e903f40, v4
	v_fmac_f32_e32 v18, 0xbf68dda4, v4
	v_add_f32_e32 v75, v2, v1
	v_fmac_f32_e32 v3, 0x3f68dda4, v4
	v_mul_f32_e32 v2, 0xbe903f40, v55
	v_add_f32_e32 v70, v70, v74
	v_add_f32_e32 v74, v18, v76
	;; [unrolled: 1-line block ×4, first 2 shown]
	v_mov_b32_e32 v0, v2
	v_fma_f32 v2, v77, s10, -v2
	v_mul_f32_e32 v4, 0x3f0a6770, v55
	v_mul_f32_e32 v3, 0xbf75a155, v78
	v_add_f32_e32 v18, v2, v6
	v_mov_b32_e32 v2, v4
	v_mov_b32_e32 v1, v3
	v_fmac_f32_e32 v3, 0xbe903f40, v79
	v_fmac_f32_e32 v2, 0x3f575c64, v77
	v_mul_f32_e32 v5, 0x3f575c64, v78
	v_fma_f32 v4, v77, s8, -v4
	v_mul_f32_e32 v8, 0xbf4178ce, v55
	v_fmac_f32_e32 v0, 0xbf75a155, v77
	v_fmac_f32_e32 v1, 0x3e903f40, v79
	v_add_f32_e32 v19, v3, v10
	v_add_f32_e32 v2, v2, v13
	v_mov_b32_e32 v3, v5
	v_add_f32_e32 v4, v4, v12
	v_fmac_f32_e32 v5, 0x3f0a6770, v79
	v_mov_b32_e32 v6, v8
	v_mul_f32_e32 v9, 0xbf27a4f4, v78
	v_fma_f32 v8, v77, s9, -v8
	v_mul_f32_e32 v12, 0x3f68dda4, v55
	v_mul_f32_e32 v13, 0x3ed4b147, v78
	;; [unrolled: 1-line block ×4, first 2 shown]
	v_add_f32_e32 v0, v0, v7
	v_add_f32_e32 v1, v1, v11
	;; [unrolled: 1-line block ×3, first 2 shown]
	v_mov_b32_e32 v7, v9
	v_add_f32_e32 v8, v8, v15
	v_mov_b32_e32 v10, v12
	v_mov_b32_e32 v11, v13
	;; [unrolled: 1-line block ×4, first 2 shown]
	v_fmac_f32_e32 v3, 0xbf0a6770, v79
	v_fmac_f32_e32 v6, 0xbf27a4f4, v77
	;; [unrolled: 1-line block ×6, first 2 shown]
	v_fma_f32 v12, v77, s6, -v12
	v_fmac_f32_e32 v13, 0x3f68dda4, v79
	v_fmac_f32_e32 v14, 0xbe11bafb, v77
	;; [unrolled: 1-line block ×3, first 2 shown]
	v_fma_f32 v55, v77, s7, -v55
	v_fmac_f32_e32 v56, 0xbf7d64f0, v79
	v_add_f32_e32 v3, v3, v60
	v_add_f32_e32 v6, v6, v57
	;; [unrolled: 1-line block ×12, first 2 shown]
	s_waitcnt lgkmcnt(0)
	; wave barrier
	ds_write2_b64 v66, v[67:68], v[0:1] offset1:1
	ds_write2_b64 v66, v[2:3], v[6:7] offset0:2 offset1:3
	ds_write2_b64 v66, v[10:11], v[14:15] offset0:4 offset1:5
	;; [unrolled: 1-line block ×4, first 2 shown]
	ds_write_b64 v66, v[18:19] offset:80
	s_waitcnt lgkmcnt(0)
	; wave barrier
	s_waitcnt lgkmcnt(0)
	ds_read2_b64 v[12:15], v62 offset0:11 offset1:13
	ds_read2_b64 v[4:7], v62 offset0:2 offset1:4
	ds_read2_b64 v[0:3], v62 offset0:6 offset1:8
	ds_read2_b64 v[8:11], v62 offset0:15 offset1:17
	ds_read_b64 v[55:56], v63
	ds_read_b64 v[57:58], v62 offset:152
	s_and_saveexec_b64 s[6:7], vcc
	s_cbranch_execz .LBB0_7
; %bb.6:
	ds_read_b64 v[18:19], v59 offset:80
	ds_read_b64 v[16:17], v65 offset:168
.LBB0_7:
	s_or_b64 exec, exec, s[6:7]
	s_waitcnt lgkmcnt(5)
	v_mul_f32_e32 v60, v46, v13
	v_fmac_f32_e32 v60, v45, v12
	v_mul_f32_e32 v12, v46, v12
	v_fma_f32 v12, v45, v13, -v12
	v_mul_f32_e32 v13, v48, v15
	v_fmac_f32_e32 v13, v47, v14
	v_mul_f32_e32 v14, v48, v14
	v_fma_f32 v14, v47, v15, -v14
	s_waitcnt lgkmcnt(2)
	v_mul_f32_e32 v15, v50, v9
	v_fmac_f32_e32 v15, v49, v8
	v_mul_f32_e32 v8, v50, v8
	v_fma_f32 v45, v49, v9, -v8
	v_mul_f32_e32 v8, v52, v10
	v_mul_f32_e32 v46, v52, v11
	v_fma_f32 v47, v51, v11, -v8
	s_waitcnt lgkmcnt(0)
	v_mul_f32_e32 v48, v54, v58
	v_mul_f32_e32 v8, v54, v57
	v_fmac_f32_e32 v46, v51, v10
	v_fmac_f32_e32 v48, v53, v57
	v_fma_f32 v49, v53, v58, -v8
	v_sub_f32_e32 v8, v55, v60
	v_sub_f32_e32 v9, v56, v12
	v_fma_f32 v10, v55, 2.0, -v8
	v_fma_f32 v11, v56, 2.0, -v9
	v_sub_f32_e32 v12, v4, v13
	v_sub_f32_e32 v13, v5, v14
	;; [unrolled: 1-line block ×8, first 2 shown]
	v_fma_f32 v4, v4, 2.0, -v12
	v_fma_f32 v5, v5, 2.0, -v13
	;; [unrolled: 1-line block ×8, first 2 shown]
	ds_write_b64 v63, v[10:11]
	ds_write2_b64 v62, v[8:9], v[12:13] offset0:11 offset1:13
	ds_write2_b64 v62, v[4:5], v[6:7] offset0:2 offset1:4
	ds_write2_b64 v62, v[14:15], v[45:46] offset0:15 offset1:17
	ds_write2_b64 v62, v[0:1], v[2:3] offset0:6 offset1:8
	ds_write_b64 v62, v[47:48] offset:152
	s_and_saveexec_b64 s[6:7], vcc
	s_cbranch_execz .LBB0_9
; %bb.8:
	v_mul_f32_e32 v0, v44, v16
	v_fma_f32 v0, v43, v17, -v0
	v_sub_f32_e32 v1, v19, v0
	v_mul_f32_e32 v0, v44, v17
	v_fmac_f32_e32 v0, v43, v16
	v_sub_f32_e32 v0, v18, v0
	v_fma_f32 v3, v19, 2.0, -v1
	v_fma_f32 v2, v18, 2.0, -v0
	ds_write_b64 v59, v[2:3] offset:80
	ds_write_b64 v65, v[0:1] offset:168
.LBB0_9:
	s_or_b64 exec, exec, s[6:7]
	s_waitcnt lgkmcnt(0)
	; wave barrier
	s_waitcnt lgkmcnt(0)
	ds_read_b64 v[0:1], v63
	ds_read_b64 v[8:9], v62 offset:160
	ds_read_b64 v[10:11], v59 offset:80
	v_mad_u64_u32 v[4:5], s[6:7], s2, v20, 0
	s_waitcnt lgkmcnt(2)
	v_mul_f32_e32 v3, v42, v1
	v_fmac_f32_e32 v3, v41, v0
	v_mul_f32_e32 v0, v42, v0
	v_fma_f32 v0, v41, v1, -v0
	v_mov_b32_e32 v2, v5
	v_cvt_f64_f32_e32 v[5:6], v3
	v_cvt_f64_f32_e32 v[0:1], v0
	s_mov_b32 s6, 0x745d1746
	s_mov_b32 s7, 0x3fa745d1
	v_mul_f64 v[6:7], v[5:6], s[6:7]
	v_mul_f64 v[0:1], v[0:1], s[6:7]
	v_mad_u64_u32 v[2:3], s[2:3], s3, v20, v[2:3]
	v_mul_lo_u32 v13, s1, v61
	v_mul_lo_u32 v12, s0, v61
	v_mov_b32_e32 v5, v2
	v_lshlrev_b64 v[4:5], 3, v[4:5]
	v_cvt_f32_f64_e32 v6, v[6:7]
	v_cvt_f32_f64_e32 v7, v[0:1]
	ds_read2_b64 v[0:3], v62 offset0:2 offset1:4
	v_mov_b32_e32 v16, s5
	v_add_co_u32_e32 v17, vcc, s4, v4
	v_addc_co_u32_e32 v16, vcc, v16, v5, vcc
	s_waitcnt lgkmcnt(0)
	v_mul_f32_e32 v14, v40, v1
	v_fmac_f32_e32 v14, v39, v0
	v_cvt_f64_f32_e32 v[14:15], v14
	v_lshlrev_b64 v[4:5], 3, v[12:13]
	v_mul_f32_e32 v0, v40, v0
	v_fma_f32 v0, v39, v1, -v0
	v_mul_f64 v[12:13], v[14:15], s[6:7]
	v_cvt_f64_f32_e32 v[0:1], v0
	v_add_co_u32_e32 v14, vcc, v17, v4
	v_addc_co_u32_e32 v15, vcc, v16, v5, vcc
	v_mul_f64 v[0:1], v[0:1], s[6:7]
	global_store_dwordx2 v[14:15], v[6:7], off
	v_cvt_f32_f64_e32 v12, v[12:13]
	v_mul_f32_e32 v13, v34, v3
	v_fmac_f32_e32 v13, v33, v2
	v_mul_f32_e32 v2, v34, v2
	v_fma_f32 v2, v33, v3, -v2
	v_cvt_f64_f32_e32 v[16:17], v13
	v_cvt_f64_f32_e32 v[2:3], v2
	v_cvt_f32_f64_e32 v13, v[0:1]
	ds_read2_b64 v[4:7], v62 offset0:6 offset1:8
	v_mul_f64 v[0:1], v[16:17], s[6:7]
	v_mul_f64 v[2:3], v[2:3], s[6:7]
	s_lshl_b64 s[0:1], s[0:1], 4
	v_mov_b32_e32 v16, s1
	v_add_co_u32_e32 v14, vcc, s0, v14
	v_addc_co_u32_e32 v15, vcc, v15, v16, vcc
	v_cvt_f32_f64_e32 v0, v[0:1]
	v_cvt_f32_f64_e32 v1, v[2:3]
	s_waitcnt lgkmcnt(0)
	v_mul_f32_e32 v2, v22, v5
	v_fmac_f32_e32 v2, v21, v4
	v_mul_f32_e32 v4, v22, v4
	v_fma_f32 v4, v21, v5, -v4
	v_cvt_f64_f32_e32 v[2:3], v2
	v_cvt_f64_f32_e32 v[4:5], v4
	global_store_dwordx2 v[14:15], v[12:13], off
	v_add_co_u32_e32 v12, vcc, s0, v14
	v_mul_f32_e32 v14, v36, v7
	v_mul_f64 v[2:3], v[2:3], s[6:7]
	v_mul_f64 v[4:5], v[4:5], s[6:7]
	v_fmac_f32_e32 v14, v35, v6
	v_mul_f32_e32 v6, v36, v6
	v_fma_f32 v6, v35, v7, -v6
	v_cvt_f64_f32_e32 v[6:7], v6
	v_addc_co_u32_e32 v13, vcc, v15, v16, vcc
	v_cvt_f64_f32_e32 v[14:15], v14
	v_mul_f64 v[6:7], v[6:7], s[6:7]
	global_store_dwordx2 v[12:13], v[0:1], off
	v_cvt_f32_f64_e32 v0, v[2:3]
	v_mul_f64 v[2:3], v[14:15], s[6:7]
	v_cvt_f32_f64_e32 v1, v[4:5]
	v_add_co_u32_e32 v4, vcc, s0, v12
	v_addc_co_u32_e32 v5, vcc, v13, v16, vcc
	global_store_dwordx2 v[4:5], v[0:1], off
	v_mul_f32_e32 v0, v24, v11
	v_fmac_f32_e32 v0, v23, v10
	v_cvt_f32_f64_e32 v13, v[6:7]
	v_cvt_f64_f32_e32 v[6:7], v0
	v_mul_f32_e32 v0, v24, v10
	v_fma_f32 v0, v23, v11, -v0
	v_cvt_f32_f64_e32 v12, v[2:3]
	v_cvt_f64_f32_e32 v[10:11], v0
	ds_read2_b64 v[0:3], v62 offset0:12 offset1:14
	v_mul_f64 v[6:7], v[6:7], s[6:7]
	v_add_co_u32_e32 v4, vcc, s0, v4
	v_mul_f64 v[10:11], v[10:11], s[6:7]
	s_waitcnt lgkmcnt(0)
	v_mul_f32_e32 v14, v38, v1
	v_fmac_f32_e32 v14, v37, v0
	v_mul_f32_e32 v0, v38, v0
	v_fma_f32 v0, v37, v1, -v0
	v_cvt_f64_f32_e32 v[0:1], v0
	v_cvt_f64_f32_e32 v[14:15], v14
	v_addc_co_u32_e32 v5, vcc, v5, v16, vcc
	v_mul_f64 v[0:1], v[0:1], s[6:7]
	global_store_dwordx2 v[4:5], v[12:13], off
	v_cvt_f32_f64_e32 v6, v[6:7]
	v_mul_f64 v[12:13], v[14:15], s[6:7]
	v_cvt_f32_f64_e32 v7, v[10:11]
	v_add_co_u32_e32 v4, vcc, s0, v4
	v_addc_co_u32_e32 v5, vcc, v5, v16, vcc
	global_store_dwordx2 v[4:5], v[6:7], off
	v_cvt_f32_f64_e32 v7, v[0:1]
	v_mul_f32_e32 v0, v26, v3
	v_fmac_f32_e32 v0, v25, v2
	v_cvt_f64_f32_e32 v[10:11], v0
	v_mul_f32_e32 v0, v26, v2
	v_fma_f32 v0, v25, v3, -v0
	v_cvt_f32_f64_e32 v6, v[12:13]
	v_cvt_f64_f32_e32 v[12:13], v0
	ds_read2_b64 v[0:3], v62 offset0:16 offset1:18
	v_mul_f64 v[10:11], v[10:11], s[6:7]
	v_add_co_u32_e32 v4, vcc, s0, v4
	v_mul_f64 v[12:13], v[12:13], s[6:7]
	s_waitcnt lgkmcnt(0)
	v_mul_f32_e32 v14, v32, v1
	v_fmac_f32_e32 v14, v31, v0
	v_mul_f32_e32 v0, v32, v0
	v_fma_f32 v0, v31, v1, -v0
	v_cvt_f64_f32_e32 v[0:1], v0
	v_cvt_f64_f32_e32 v[14:15], v14
	v_addc_co_u32_e32 v5, vcc, v5, v16, vcc
	v_mul_f64 v[0:1], v[0:1], s[6:7]
	global_store_dwordx2 v[4:5], v[6:7], off
	v_cvt_f32_f64_e32 v6, v[10:11]
	v_mul_f64 v[10:11], v[14:15], s[6:7]
	v_cvt_f32_f64_e32 v7, v[12:13]
	v_add_co_u32_e32 v4, vcc, s0, v4
	v_addc_co_u32_e32 v5, vcc, v5, v16, vcc
	global_store_dwordx2 v[4:5], v[6:7], off
	v_cvt_f32_f64_e32 v7, v[0:1]
	v_mul_f32_e32 v0, v28, v3
	v_fmac_f32_e32 v0, v27, v2
	v_mul_f32_e32 v2, v28, v2
	v_fma_f32 v2, v27, v3, -v2
	v_cvt_f64_f32_e32 v[0:1], v0
	v_cvt_f64_f32_e32 v[2:3], v2
	v_cvt_f32_f64_e32 v6, v[10:11]
	v_mul_f32_e32 v10, v30, v9
	v_fmac_f32_e32 v10, v29, v8
	v_mul_f32_e32 v8, v30, v8
	v_fma_f32 v8, v29, v9, -v8
	v_mul_f64 v[0:1], v[0:1], s[6:7]
	v_mul_f64 v[2:3], v[2:3], s[6:7]
	v_cvt_f64_f32_e32 v[10:11], v10
	v_cvt_f64_f32_e32 v[8:9], v8
	v_add_co_u32_e32 v4, vcc, s0, v4
	v_addc_co_u32_e32 v5, vcc, v5, v16, vcc
	global_store_dwordx2 v[4:5], v[6:7], off
	v_mul_f64 v[6:7], v[10:11], s[6:7]
	v_mul_f64 v[8:9], v[8:9], s[6:7]
	v_cvt_f32_f64_e32 v0, v[0:1]
	v_cvt_f32_f64_e32 v1, v[2:3]
	v_add_co_u32_e32 v2, vcc, s0, v4
	v_addc_co_u32_e32 v3, vcc, v5, v16, vcc
	global_store_dwordx2 v[2:3], v[0:1], off
	v_cvt_f32_f64_e32 v0, v[6:7]
	v_cvt_f32_f64_e32 v1, v[8:9]
	v_add_co_u32_e32 v2, vcc, s0, v2
	v_addc_co_u32_e32 v3, vcc, v3, v16, vcc
	global_store_dwordx2 v[2:3], v[0:1], off
.LBB0_10:
	s_endpgm
	.section	.rodata,"a",@progbits
	.p2align	6, 0x0
	.amdhsa_kernel bluestein_single_fwd_len22_dim1_sp_op_CI_CI
		.amdhsa_group_segment_fixed_size 5632
		.amdhsa_private_segment_fixed_size 0
		.amdhsa_kernarg_size 104
		.amdhsa_user_sgpr_count 6
		.amdhsa_user_sgpr_private_segment_buffer 1
		.amdhsa_user_sgpr_dispatch_ptr 0
		.amdhsa_user_sgpr_queue_ptr 0
		.amdhsa_user_sgpr_kernarg_segment_ptr 1
		.amdhsa_user_sgpr_dispatch_id 0
		.amdhsa_user_sgpr_flat_scratch_init 0
		.amdhsa_user_sgpr_private_segment_size 0
		.amdhsa_uses_dynamic_stack 0
		.amdhsa_system_sgpr_private_segment_wavefront_offset 0
		.amdhsa_system_sgpr_workgroup_id_x 1
		.amdhsa_system_sgpr_workgroup_id_y 0
		.amdhsa_system_sgpr_workgroup_id_z 0
		.amdhsa_system_sgpr_workgroup_info 0
		.amdhsa_system_vgpr_workitem_id 0
		.amdhsa_next_free_vgpr 95
		.amdhsa_next_free_sgpr 20
		.amdhsa_reserve_vcc 1
		.amdhsa_reserve_flat_scratch 0
		.amdhsa_float_round_mode_32 0
		.amdhsa_float_round_mode_16_64 0
		.amdhsa_float_denorm_mode_32 3
		.amdhsa_float_denorm_mode_16_64 3
		.amdhsa_dx10_clamp 1
		.amdhsa_ieee_mode 1
		.amdhsa_fp16_overflow 0
		.amdhsa_exception_fp_ieee_invalid_op 0
		.amdhsa_exception_fp_denorm_src 0
		.amdhsa_exception_fp_ieee_div_zero 0
		.amdhsa_exception_fp_ieee_overflow 0
		.amdhsa_exception_fp_ieee_underflow 0
		.amdhsa_exception_fp_ieee_inexact 0
		.amdhsa_exception_int_div_zero 0
	.end_amdhsa_kernel
	.text
.Lfunc_end0:
	.size	bluestein_single_fwd_len22_dim1_sp_op_CI_CI, .Lfunc_end0-bluestein_single_fwd_len22_dim1_sp_op_CI_CI
                                        ; -- End function
	.section	.AMDGPU.csdata,"",@progbits
; Kernel info:
; codeLenInByte = 7316
; NumSgprs: 24
; NumVgprs: 95
; ScratchSize: 0
; MemoryBound: 0
; FloatMode: 240
; IeeeMode: 1
; LDSByteSize: 5632 bytes/workgroup (compile time only)
; SGPRBlocks: 2
; VGPRBlocks: 23
; NumSGPRsForWavesPerEU: 24
; NumVGPRsForWavesPerEU: 95
; Occupancy: 2
; WaveLimiterHint : 1
; COMPUTE_PGM_RSRC2:SCRATCH_EN: 0
; COMPUTE_PGM_RSRC2:USER_SGPR: 6
; COMPUTE_PGM_RSRC2:TRAP_HANDLER: 0
; COMPUTE_PGM_RSRC2:TGID_X_EN: 1
; COMPUTE_PGM_RSRC2:TGID_Y_EN: 0
; COMPUTE_PGM_RSRC2:TGID_Z_EN: 0
; COMPUTE_PGM_RSRC2:TIDIG_COMP_CNT: 0
	.type	__hip_cuid_210fce62e436aec3,@object ; @__hip_cuid_210fce62e436aec3
	.section	.bss,"aw",@nobits
	.globl	__hip_cuid_210fce62e436aec3
__hip_cuid_210fce62e436aec3:
	.byte	0                               ; 0x0
	.size	__hip_cuid_210fce62e436aec3, 1

	.ident	"AMD clang version 19.0.0git (https://github.com/RadeonOpenCompute/llvm-project roc-6.4.0 25133 c7fe45cf4b819c5991fe208aaa96edf142730f1d)"
	.section	".note.GNU-stack","",@progbits
	.addrsig
	.addrsig_sym __hip_cuid_210fce62e436aec3
	.amdgpu_metadata
---
amdhsa.kernels:
  - .args:
      - .actual_access:  read_only
        .address_space:  global
        .offset:         0
        .size:           8
        .value_kind:     global_buffer
      - .actual_access:  read_only
        .address_space:  global
        .offset:         8
        .size:           8
        .value_kind:     global_buffer
      - .actual_access:  read_only
        .address_space:  global
        .offset:         16
        .size:           8
        .value_kind:     global_buffer
      - .actual_access:  read_only
        .address_space:  global
        .offset:         24
        .size:           8
        .value_kind:     global_buffer
      - .actual_access:  read_only
        .address_space:  global
        .offset:         32
        .size:           8
        .value_kind:     global_buffer
      - .offset:         40
        .size:           8
        .value_kind:     by_value
      - .address_space:  global
        .offset:         48
        .size:           8
        .value_kind:     global_buffer
      - .address_space:  global
        .offset:         56
        .size:           8
        .value_kind:     global_buffer
      - .address_space:  global
        .offset:         64
        .size:           8
        .value_kind:     global_buffer
      - .address_space:  global
        .offset:         72
        .size:           8
        .value_kind:     global_buffer
      - .offset:         80
        .size:           4
        .value_kind:     by_value
      - .address_space:  global
        .offset:         88
        .size:           8
        .value_kind:     global_buffer
      - .address_space:  global
        .offset:         96
        .size:           8
        .value_kind:     global_buffer
    .group_segment_fixed_size: 5632
    .kernarg_segment_align: 8
    .kernarg_segment_size: 104
    .language:       OpenCL C
    .language_version:
      - 2
      - 0
    .max_flat_workgroup_size: 64
    .name:           bluestein_single_fwd_len22_dim1_sp_op_CI_CI
    .private_segment_fixed_size: 0
    .sgpr_count:     24
    .sgpr_spill_count: 0
    .symbol:         bluestein_single_fwd_len22_dim1_sp_op_CI_CI.kd
    .uniform_work_group_size: 1
    .uses_dynamic_stack: false
    .vgpr_count:     95
    .vgpr_spill_count: 0
    .wavefront_size: 64
amdhsa.target:   amdgcn-amd-amdhsa--gfx906
amdhsa.version:
  - 1
  - 2
...

	.end_amdgpu_metadata
